;; amdgpu-corpus repo=ROCm/rocFFT kind=compiled arch=gfx1201 opt=O3
	.text
	.amdgcn_target "amdgcn-amd-amdhsa--gfx1201"
	.amdhsa_code_object_version 6
	.protected	fft_rtc_back_len704_factors_2_2_2_2_11_2_2_wgs_176_tpt_88_halfLds_dp_ip_CI_unitstride_sbrr_C2R_dirReg ; -- Begin function fft_rtc_back_len704_factors_2_2_2_2_11_2_2_wgs_176_tpt_88_halfLds_dp_ip_CI_unitstride_sbrr_C2R_dirReg
	.globl	fft_rtc_back_len704_factors_2_2_2_2_11_2_2_wgs_176_tpt_88_halfLds_dp_ip_CI_unitstride_sbrr_C2R_dirReg
	.p2align	8
	.type	fft_rtc_back_len704_factors_2_2_2_2_11_2_2_wgs_176_tpt_88_halfLds_dp_ip_CI_unitstride_sbrr_C2R_dirReg,@function
fft_rtc_back_len704_factors_2_2_2_2_11_2_2_wgs_176_tpt_88_halfLds_dp_ip_CI_unitstride_sbrr_C2R_dirReg: ; @fft_rtc_back_len704_factors_2_2_2_2_11_2_2_wgs_176_tpt_88_halfLds_dp_ip_CI_unitstride_sbrr_C2R_dirReg
; %bb.0:
	s_clause 0x2
	s_load_b128 s[4:7], s[0:1], 0x0
	s_load_b64 s[8:9], s[0:1], 0x50
	s_load_b64 s[10:11], s[0:1], 0x18
	v_mul_u32_u24_e32 v1, 0x2e9, v0
	v_mov_b32_e32 v3, 0
	s_delay_alu instid0(VALU_DEP_2) | instskip(SKIP_2) | instid1(VALU_DEP_4)
	v_lshrrev_b32_e32 v9, 16, v1
	v_mov_b32_e32 v1, 0
	v_mov_b32_e32 v2, 0
	;; [unrolled: 1-line block ×3, first 2 shown]
	s_delay_alu instid0(VALU_DEP_4) | instskip(SKIP_2) | instid1(VALU_DEP_1)
	v_lshl_add_u32 v5, ttmp9, 1, v9
	s_wait_kmcnt 0x0
	v_cmp_lt_u64_e64 s2, s[6:7], 2
	s_and_b32 vcc_lo, exec_lo, s2
	s_cbranch_vccnz .LBB0_8
; %bb.1:
	s_load_b64 s[2:3], s[0:1], 0x10
	v_mov_b32_e32 v1, 0
	v_mov_b32_e32 v2, 0
	s_add_nc_u64 s[12:13], s[10:11], 8
	s_mov_b64 s[14:15], 1
	s_wait_kmcnt 0x0
	s_add_nc_u64 s[16:17], s[2:3], 8
	s_mov_b32 s3, 0
.LBB0_2:                                ; =>This Inner Loop Header: Depth=1
	s_load_b64 s[18:19], s[16:17], 0x0
                                        ; implicit-def: $vgpr7_vgpr8
	s_mov_b32 s2, exec_lo
	s_wait_kmcnt 0x0
	v_or_b32_e32 v4, s19, v6
	s_delay_alu instid0(VALU_DEP_1)
	v_cmpx_ne_u64_e32 0, v[3:4]
	s_wait_alu 0xfffe
	s_xor_b32 s20, exec_lo, s2
	s_cbranch_execz .LBB0_4
; %bb.3:                                ;   in Loop: Header=BB0_2 Depth=1
	s_cvt_f32_u32 s2, s18
	s_cvt_f32_u32 s21, s19
	s_sub_nc_u64 s[24:25], 0, s[18:19]
	s_wait_alu 0xfffe
	s_delay_alu instid0(SALU_CYCLE_1) | instskip(SKIP_1) | instid1(SALU_CYCLE_2)
	s_fmamk_f32 s2, s21, 0x4f800000, s2
	s_wait_alu 0xfffe
	v_s_rcp_f32 s2, s2
	s_delay_alu instid0(TRANS32_DEP_1) | instskip(SKIP_1) | instid1(SALU_CYCLE_2)
	s_mul_f32 s2, s2, 0x5f7ffffc
	s_wait_alu 0xfffe
	s_mul_f32 s21, s2, 0x2f800000
	s_wait_alu 0xfffe
	s_delay_alu instid0(SALU_CYCLE_2) | instskip(SKIP_1) | instid1(SALU_CYCLE_2)
	s_trunc_f32 s21, s21
	s_wait_alu 0xfffe
	s_fmamk_f32 s2, s21, 0xcf800000, s2
	s_cvt_u32_f32 s23, s21
	s_wait_alu 0xfffe
	s_delay_alu instid0(SALU_CYCLE_1) | instskip(SKIP_1) | instid1(SALU_CYCLE_2)
	s_cvt_u32_f32 s22, s2
	s_wait_alu 0xfffe
	s_mul_u64 s[26:27], s[24:25], s[22:23]
	s_wait_alu 0xfffe
	s_mul_hi_u32 s29, s22, s27
	s_mul_i32 s28, s22, s27
	s_mul_hi_u32 s2, s22, s26
	s_mul_i32 s30, s23, s26
	s_wait_alu 0xfffe
	s_add_nc_u64 s[28:29], s[2:3], s[28:29]
	s_mul_hi_u32 s21, s23, s26
	s_mul_hi_u32 s31, s23, s27
	s_add_co_u32 s2, s28, s30
	s_wait_alu 0xfffe
	s_add_co_ci_u32 s2, s29, s21
	s_mul_i32 s26, s23, s27
	s_add_co_ci_u32 s27, s31, 0
	s_wait_alu 0xfffe
	s_add_nc_u64 s[26:27], s[2:3], s[26:27]
	s_wait_alu 0xfffe
	v_add_co_u32 v4, s2, s22, s26
	s_delay_alu instid0(VALU_DEP_1) | instskip(SKIP_1) | instid1(VALU_DEP_1)
	s_cmp_lg_u32 s2, 0
	s_add_co_ci_u32 s23, s23, s27
	v_readfirstlane_b32 s22, v4
	s_wait_alu 0xfffe
	s_delay_alu instid0(VALU_DEP_1)
	s_mul_u64 s[24:25], s[24:25], s[22:23]
	s_wait_alu 0xfffe
	s_mul_hi_u32 s27, s22, s25
	s_mul_i32 s26, s22, s25
	s_mul_hi_u32 s2, s22, s24
	s_mul_i32 s28, s23, s24
	s_wait_alu 0xfffe
	s_add_nc_u64 s[26:27], s[2:3], s[26:27]
	s_mul_hi_u32 s21, s23, s24
	s_mul_hi_u32 s22, s23, s25
	s_wait_alu 0xfffe
	s_add_co_u32 s2, s26, s28
	s_add_co_ci_u32 s2, s27, s21
	s_mul_i32 s24, s23, s25
	s_add_co_ci_u32 s25, s22, 0
	s_wait_alu 0xfffe
	s_add_nc_u64 s[24:25], s[2:3], s[24:25]
	s_wait_alu 0xfffe
	v_add_co_u32 v4, s2, v4, s24
	s_delay_alu instid0(VALU_DEP_1) | instskip(SKIP_1) | instid1(VALU_DEP_1)
	s_cmp_lg_u32 s2, 0
	s_add_co_ci_u32 s2, s23, s25
	v_mul_hi_u32 v14, v5, v4
	s_wait_alu 0xfffe
	v_mad_co_u64_u32 v[7:8], null, v5, s2, 0
	v_mad_co_u64_u32 v[10:11], null, v6, v4, 0
	;; [unrolled: 1-line block ×3, first 2 shown]
	s_delay_alu instid0(VALU_DEP_3) | instskip(SKIP_1) | instid1(VALU_DEP_4)
	v_add_co_u32 v4, vcc_lo, v14, v7
	s_wait_alu 0xfffd
	v_add_co_ci_u32_e32 v7, vcc_lo, 0, v8, vcc_lo
	s_delay_alu instid0(VALU_DEP_2) | instskip(SKIP_1) | instid1(VALU_DEP_2)
	v_add_co_u32 v4, vcc_lo, v4, v10
	s_wait_alu 0xfffd
	v_add_co_ci_u32_e32 v4, vcc_lo, v7, v11, vcc_lo
	s_wait_alu 0xfffd
	v_add_co_ci_u32_e32 v7, vcc_lo, 0, v13, vcc_lo
	s_delay_alu instid0(VALU_DEP_2) | instskip(SKIP_1) | instid1(VALU_DEP_2)
	v_add_co_u32 v4, vcc_lo, v4, v12
	s_wait_alu 0xfffd
	v_add_co_ci_u32_e32 v10, vcc_lo, 0, v7, vcc_lo
	s_delay_alu instid0(VALU_DEP_2) | instskip(SKIP_1) | instid1(VALU_DEP_3)
	v_mul_lo_u32 v11, s19, v4
	v_mad_co_u64_u32 v[7:8], null, s18, v4, 0
	v_mul_lo_u32 v12, s18, v10
	s_delay_alu instid0(VALU_DEP_2) | instskip(NEXT) | instid1(VALU_DEP_2)
	v_sub_co_u32 v7, vcc_lo, v5, v7
	v_add3_u32 v8, v8, v12, v11
	s_delay_alu instid0(VALU_DEP_1) | instskip(SKIP_1) | instid1(VALU_DEP_1)
	v_sub_nc_u32_e32 v11, v6, v8
	s_wait_alu 0xfffd
	v_subrev_co_ci_u32_e64 v11, s2, s19, v11, vcc_lo
	v_add_co_u32 v12, s2, v4, 2
	s_wait_alu 0xf1ff
	v_add_co_ci_u32_e64 v13, s2, 0, v10, s2
	v_sub_co_u32 v14, s2, v7, s18
	v_sub_co_ci_u32_e32 v8, vcc_lo, v6, v8, vcc_lo
	s_wait_alu 0xf1ff
	v_subrev_co_ci_u32_e64 v11, s2, 0, v11, s2
	s_delay_alu instid0(VALU_DEP_3) | instskip(NEXT) | instid1(VALU_DEP_3)
	v_cmp_le_u32_e32 vcc_lo, s18, v14
	v_cmp_eq_u32_e64 s2, s19, v8
	s_wait_alu 0xfffd
	v_cndmask_b32_e64 v14, 0, -1, vcc_lo
	v_cmp_le_u32_e32 vcc_lo, s19, v11
	s_wait_alu 0xfffd
	v_cndmask_b32_e64 v15, 0, -1, vcc_lo
	v_cmp_le_u32_e32 vcc_lo, s18, v7
	;; [unrolled: 3-line block ×3, first 2 shown]
	s_wait_alu 0xfffd
	v_cndmask_b32_e64 v16, 0, -1, vcc_lo
	v_cmp_eq_u32_e32 vcc_lo, s19, v11
	s_wait_alu 0xf1ff
	s_delay_alu instid0(VALU_DEP_2)
	v_cndmask_b32_e64 v7, v16, v7, s2
	s_wait_alu 0xfffd
	v_cndmask_b32_e32 v11, v15, v14, vcc_lo
	v_add_co_u32 v14, vcc_lo, v4, 1
	s_wait_alu 0xfffd
	v_add_co_ci_u32_e32 v15, vcc_lo, 0, v10, vcc_lo
	s_delay_alu instid0(VALU_DEP_3) | instskip(SKIP_1) | instid1(VALU_DEP_2)
	v_cmp_ne_u32_e32 vcc_lo, 0, v11
	s_wait_alu 0xfffd
	v_dual_cndmask_b32 v8, v15, v13 :: v_dual_cndmask_b32 v11, v14, v12
	v_cmp_ne_u32_e32 vcc_lo, 0, v7
	s_wait_alu 0xfffd
	s_delay_alu instid0(VALU_DEP_2)
	v_dual_cndmask_b32 v8, v10, v8 :: v_dual_cndmask_b32 v7, v4, v11
.LBB0_4:                                ;   in Loop: Header=BB0_2 Depth=1
	s_wait_alu 0xfffe
	s_and_not1_saveexec_b32 s2, s20
	s_cbranch_execz .LBB0_6
; %bb.5:                                ;   in Loop: Header=BB0_2 Depth=1
	v_cvt_f32_u32_e32 v4, s18
	s_sub_co_i32 s20, 0, s18
	s_delay_alu instid0(VALU_DEP_1) | instskip(NEXT) | instid1(TRANS32_DEP_1)
	v_rcp_iflag_f32_e32 v4, v4
	v_mul_f32_e32 v4, 0x4f7ffffe, v4
	s_delay_alu instid0(VALU_DEP_1) | instskip(SKIP_1) | instid1(VALU_DEP_1)
	v_cvt_u32_f32_e32 v4, v4
	s_wait_alu 0xfffe
	v_mul_lo_u32 v7, s20, v4
	s_delay_alu instid0(VALU_DEP_1) | instskip(NEXT) | instid1(VALU_DEP_1)
	v_mul_hi_u32 v7, v4, v7
	v_add_nc_u32_e32 v4, v4, v7
	s_delay_alu instid0(VALU_DEP_1) | instskip(NEXT) | instid1(VALU_DEP_1)
	v_mul_hi_u32 v4, v5, v4
	v_mul_lo_u32 v7, v4, s18
	v_add_nc_u32_e32 v8, 1, v4
	s_delay_alu instid0(VALU_DEP_2) | instskip(NEXT) | instid1(VALU_DEP_1)
	v_sub_nc_u32_e32 v7, v5, v7
	v_subrev_nc_u32_e32 v10, s18, v7
	v_cmp_le_u32_e32 vcc_lo, s18, v7
	s_wait_alu 0xfffd
	s_delay_alu instid0(VALU_DEP_2) | instskip(NEXT) | instid1(VALU_DEP_1)
	v_dual_cndmask_b32 v7, v7, v10 :: v_dual_cndmask_b32 v4, v4, v8
	v_cmp_le_u32_e32 vcc_lo, s18, v7
	s_delay_alu instid0(VALU_DEP_2) | instskip(SKIP_1) | instid1(VALU_DEP_1)
	v_add_nc_u32_e32 v8, 1, v4
	s_wait_alu 0xfffd
	v_dual_cndmask_b32 v7, v4, v8 :: v_dual_mov_b32 v8, v3
.LBB0_6:                                ;   in Loop: Header=BB0_2 Depth=1
	s_wait_alu 0xfffe
	s_or_b32 exec_lo, exec_lo, s2
	s_load_b64 s[20:21], s[12:13], 0x0
	s_delay_alu instid0(VALU_DEP_1)
	v_mul_lo_u32 v4, v8, s18
	v_mul_lo_u32 v12, v7, s19
	v_mad_co_u64_u32 v[10:11], null, v7, s18, 0
	s_add_nc_u64 s[14:15], s[14:15], 1
	s_add_nc_u64 s[12:13], s[12:13], 8
	s_wait_alu 0xfffe
	v_cmp_ge_u64_e64 s2, s[14:15], s[6:7]
	s_add_nc_u64 s[16:17], s[16:17], 8
	s_delay_alu instid0(VALU_DEP_2) | instskip(NEXT) | instid1(VALU_DEP_3)
	v_add3_u32 v4, v11, v12, v4
	v_sub_co_u32 v5, vcc_lo, v5, v10
	s_wait_alu 0xfffd
	s_delay_alu instid0(VALU_DEP_2) | instskip(SKIP_3) | instid1(VALU_DEP_2)
	v_sub_co_ci_u32_e32 v4, vcc_lo, v6, v4, vcc_lo
	s_and_b32 vcc_lo, exec_lo, s2
	s_wait_kmcnt 0x0
	v_mul_lo_u32 v6, s21, v5
	v_mul_lo_u32 v4, s20, v4
	v_mad_co_u64_u32 v[1:2], null, s20, v5, v[1:2]
	s_delay_alu instid0(VALU_DEP_1)
	v_add3_u32 v2, v6, v2, v4
	s_wait_alu 0xfffe
	s_cbranch_vccnz .LBB0_9
; %bb.7:                                ;   in Loop: Header=BB0_2 Depth=1
	v_dual_mov_b32 v5, v7 :: v_dual_mov_b32 v6, v8
	s_branch .LBB0_2
.LBB0_8:
	v_dual_mov_b32 v8, v6 :: v_dual_mov_b32 v7, v5
.LBB0_9:
	s_lshl_b64 s[2:3], s[6:7], 3
	v_mul_hi_u32 v3, 0x2e8ba2f, v0
	s_wait_alu 0xfffe
	s_add_nc_u64 s[2:3], s[10:11], s[2:3]
	v_and_b32_e32 v6, 1, v9
	s_load_b64 s[2:3], s[2:3], 0x0
	s_load_b64 s[0:1], s[0:1], 0x20
	s_delay_alu instid0(VALU_DEP_2) | instskip(SKIP_4) | instid1(VALU_DEP_1)
	v_mul_u32_u24_e32 v3, 0x58, v3
	s_wait_kmcnt 0x0
	v_mul_lo_u32 v4, s2, v8
	v_mul_lo_u32 v5, s3, v7
	v_mad_co_u64_u32 v[1:2], null, s2, v7, v[1:2]
	v_add3_u32 v2, v5, v2, v4
	v_mov_b32_e32 v5, 0
	v_cmp_eq_u32_e32 vcc_lo, 1, v6
	v_sub_nc_u32_e32 v4, v0, v3
	s_delay_alu instid0(VALU_DEP_4) | instskip(SKIP_4) | instid1(VALU_DEP_3)
	v_lshlrev_b64_e32 v[54:55], 4, v[1:2]
	s_wait_alu 0xfffd
	v_cndmask_b32_e64 v70, 0, 0x2c1, vcc_lo
	v_cmp_gt_u64_e32 vcc_lo, s[0:1], v[7:8]
	v_mov_b32_e32 v52, v4
	v_lshlrev_b32_e32 v72, 4, v70
	s_and_saveexec_b32 s1, vcc_lo
	s_cbranch_execz .LBB0_13
; %bb.10:
	v_lshlrev_b64_e32 v[2:3], 4, v[4:5]
	v_add_co_u32 v0, s0, s8, v54
	s_wait_alu 0xf1ff
	v_add_co_ci_u32_e64 v1, s0, s9, v55, s0
	s_mov_b32 s2, exec_lo
	s_delay_alu instid0(VALU_DEP_2) | instskip(SKIP_1) | instid1(VALU_DEP_2)
	v_add_co_u32 v2, s0, v0, v2
	s_wait_alu 0xf1ff
	v_add_co_ci_u32_e64 v3, s0, v1, v3, s0
	s_clause 0x7
	global_load_b128 v[7:10], v[2:3], off
	global_load_b128 v[11:14], v[2:3], off offset:1408
	global_load_b128 v[15:18], v[2:3], off offset:2816
	global_load_b128 v[19:22], v[2:3], off offset:4224
	global_load_b128 v[23:26], v[2:3], off offset:5632
	global_load_b128 v[27:30], v[2:3], off offset:7040
	global_load_b128 v[31:34], v[2:3], off offset:8448
	global_load_b128 v[35:38], v[2:3], off offset:9856
	v_lshlrev_b32_e32 v2, 4, v4
	s_delay_alu instid0(VALU_DEP_1)
	v_add3_u32 v6, 0, v72, v2
	v_dual_mov_b32 v2, v4 :: v_dual_mov_b32 v3, v5
	s_wait_loadcnt 0x7
	ds_store_b128 v6, v[7:10]
	s_wait_loadcnt 0x6
	ds_store_b128 v6, v[11:14] offset:1408
	s_wait_loadcnt 0x5
	ds_store_b128 v6, v[15:18] offset:2816
	;; [unrolled: 2-line block ×7, first 2 shown]
	v_cmpx_eq_u32_e32 0x57, v4
	s_cbranch_execz .LBB0_12
; %bb.11:
	global_load_b128 v[7:10], v[0:1], off offset:11264
	v_mov_b32_e32 v2, 0x57
	v_dual_mov_b32 v3, 0 :: v_dual_mov_b32 v4, 0x57
	s_wait_loadcnt 0x0
	ds_store_b128 v6, v[7:10] offset:9872
.LBB0_12:
	s_wait_alu 0xfffe
	s_or_b32 exec_lo, exec_lo, s2
	v_dual_mov_b32 v52, v4 :: v_dual_mov_b32 v5, v3
	v_mov_b32_e32 v4, v2
.LBB0_13:
	s_wait_alu 0xfffe
	s_or_b32 exec_lo, exec_lo, s1
	v_lshl_add_u32 v68, v70, 4, 0
	v_lshlrev_b32_e32 v71, 4, v52
	global_wb scope:SCOPE_SE
	s_wait_dscnt 0x0
	s_barrier_signal -1
	s_barrier_wait -1
	global_inv scope:SCOPE_SE
	v_add_nc_u32_e32 v69, v68, v71
	v_sub_nc_u32_e32 v10, v68, v71
	v_lshlrev_b64_e32 v[56:57], 4, v[4:5]
	s_mov_b32 s1, exec_lo
	ds_load_b64 v[6:7], v69
	ds_load_b64 v[8:9], v10 offset:11264
	s_wait_dscnt 0x0
	v_add_f64_e32 v[0:1], v[6:7], v[8:9]
	v_add_f64_e64 v[2:3], v[6:7], -v[8:9]
	v_cmpx_ne_u32_e32 0, v52
	s_wait_alu 0xfffe
	s_xor_b32 s1, exec_lo, s1
	s_cbranch_execz .LBB0_15
; %bb.14:
	v_add_co_u32 v0, s0, s4, v56
	s_wait_alu 0xf1ff
	v_add_co_ci_u32_e64 v1, s0, s5, v57, s0
	v_add_f64_e32 v[13:14], v[6:7], v[8:9]
	v_add_f64_e64 v[8:9], v[6:7], -v[8:9]
	global_load_b128 v[2:5], v[0:1], off offset:11232
	ds_load_b64 v[0:1], v10 offset:11272
	ds_load_b64 v[11:12], v69 offset:8
	s_wait_dscnt 0x0
	v_add_f64_e32 v[6:7], v[0:1], v[11:12]
	v_add_f64_e64 v[0:1], v[11:12], -v[0:1]
	s_wait_loadcnt 0x0
	v_fma_f64 v[11:12], v[8:9], v[4:5], v[13:14]
	v_fma_f64 v[13:14], -v[8:9], v[4:5], v[13:14]
	s_delay_alu instid0(VALU_DEP_3) | instskip(SKIP_1) | instid1(VALU_DEP_4)
	v_fma_f64 v[15:16], v[6:7], v[4:5], -v[0:1]
	v_fma_f64 v[17:18], v[6:7], v[4:5], v[0:1]
	v_fma_f64 v[0:1], -v[6:7], v[2:3], v[11:12]
	s_delay_alu instid0(VALU_DEP_4) | instskip(NEXT) | instid1(VALU_DEP_4)
	v_fma_f64 v[4:5], v[6:7], v[2:3], v[13:14]
	v_fma_f64 v[6:7], v[8:9], v[2:3], v[15:16]
	s_delay_alu instid0(VALU_DEP_4)
	v_fma_f64 v[2:3], v[8:9], v[2:3], v[17:18]
	ds_store_b128 v10, v[4:7] offset:11264
.LBB0_15:
	s_wait_alu 0xfffe
	s_and_not1_saveexec_b32 s0, s1
	s_cbranch_execz .LBB0_17
; %bb.16:
	ds_load_b128 v[4:7], v68 offset:5632
	s_wait_dscnt 0x0
	v_add_f64_e32 v[4:5], v[4:5], v[4:5]
	v_mul_f64_e32 v[6:7], -2.0, v[6:7]
	ds_store_b128 v68, v[4:7] offset:5632
.LBB0_17:
	s_wait_alu 0xfffe
	s_or_b32 exec_lo, exec_lo, s0
	v_dual_mov_b32 v53, 0 :: v_dual_add_nc_u32 v32, 0, v71
	s_add_nc_u64 s[0:1], s[4:5], 0x2be0
	v_add_nc_u32_e32 v36, 0x58, v52
	v_add_nc_u32_e32 v37, 0xb0, v52
	s_delay_alu instid0(VALU_DEP_3)
	v_lshlrev_b64_e32 v[58:59], 4, v[52:53]
	v_add_nc_u32_e32 v53, v32, v72
	v_add_nc_u32_e32 v38, 0x108, v52
	v_and_b32_e32 v39, 1, v52
	v_add_nc_u32_e32 v73, v32, v71
	v_lshlrev_b32_e32 v32, 5, v36
	s_wait_alu 0xfffe
	v_add_co_u32 v8, s0, s0, v58
	s_wait_alu 0xf1ff
	v_add_co_ci_u32_e64 v9, s0, s1, v59, s0
	v_lshlrev_b32_e32 v33, 5, v37
	v_lshlrev_b32_e32 v34, 5, v38
	;; [unrolled: 1-line block ×3, first 2 shown]
	s_clause 0x1
	global_load_b128 v[4:7], v[8:9], off offset:1408
	global_load_b128 v[11:14], v[8:9], off offset:2816
	ds_store_b128 v69, v[0:3]
	ds_load_b128 v[0:3], v69 offset:1408
	ds_load_b128 v[15:18], v10 offset:9856
	global_load_b128 v[19:22], v[8:9], off offset:4224
	v_add_nc_u32_e32 v40, v73, v72
	v_add3_u32 v32, 0, v32, v72
	v_add3_u32 v33, 0, v33, v72
	;; [unrolled: 1-line block ×3, first 2 shown]
	v_cmp_gt_u32_e64 s0, 64, v52
                                        ; implicit-def: $vgpr50_vgpr51
                                        ; implicit-def: $vgpr46_vgpr47
	s_wait_dscnt 0x0
	v_add_f64_e32 v[8:9], v[0:1], v[15:16]
	v_add_f64_e32 v[23:24], v[17:18], v[2:3]
	v_add_f64_e64 v[15:16], v[0:1], -v[15:16]
	v_add_f64_e64 v[0:1], v[2:3], -v[17:18]
	s_wait_loadcnt 0x2
	s_delay_alu instid0(VALU_DEP_2) | instskip(NEXT) | instid1(VALU_DEP_2)
	v_fma_f64 v[2:3], v[15:16], v[6:7], v[8:9]
	v_fma_f64 v[17:18], v[23:24], v[6:7], v[0:1]
	v_fma_f64 v[8:9], -v[15:16], v[6:7], v[8:9]
	v_fma_f64 v[25:26], v[23:24], v[6:7], -v[0:1]
	s_delay_alu instid0(VALU_DEP_4) | instskip(NEXT) | instid1(VALU_DEP_4)
	v_fma_f64 v[0:1], -v[23:24], v[4:5], v[2:3]
	v_fma_f64 v[2:3], v[15:16], v[4:5], v[17:18]
	s_delay_alu instid0(VALU_DEP_4) | instskip(NEXT) | instid1(VALU_DEP_4)
	v_fma_f64 v[6:7], v[23:24], v[4:5], v[8:9]
	v_fma_f64 v[8:9], v[15:16], v[4:5], v[25:26]
	ds_store_b128 v69, v[0:3] offset:1408
	ds_store_b128 v10, v[6:9] offset:9856
	ds_load_b128 v[0:3], v69 offset:2816
	ds_load_b128 v[4:7], v10 offset:8448
	s_wait_dscnt 0x0
	v_add_f64_e32 v[8:9], v[0:1], v[4:5]
	v_add_f64_e32 v[15:16], v[6:7], v[2:3]
	v_add_f64_e64 v[17:18], v[0:1], -v[4:5]
	v_add_f64_e64 v[0:1], v[2:3], -v[6:7]
	s_wait_loadcnt 0x1
	s_delay_alu instid0(VALU_DEP_2) | instskip(NEXT) | instid1(VALU_DEP_2)
	v_fma_f64 v[2:3], v[17:18], v[13:14], v[8:9]
	v_fma_f64 v[4:5], v[15:16], v[13:14], v[0:1]
	v_fma_f64 v[6:7], -v[17:18], v[13:14], v[8:9]
	v_fma_f64 v[8:9], v[15:16], v[13:14], -v[0:1]
	s_delay_alu instid0(VALU_DEP_4) | instskip(NEXT) | instid1(VALU_DEP_4)
	v_fma_f64 v[0:1], -v[15:16], v[11:12], v[2:3]
	v_fma_f64 v[2:3], v[17:18], v[11:12], v[4:5]
	s_delay_alu instid0(VALU_DEP_4) | instskip(NEXT) | instid1(VALU_DEP_4)
	v_fma_f64 v[4:5], v[15:16], v[11:12], v[6:7]
	v_fma_f64 v[6:7], v[17:18], v[11:12], v[8:9]
	ds_store_b128 v69, v[0:3] offset:2816
	ds_store_b128 v10, v[4:7] offset:8448
	ds_load_b128 v[0:3], v69 offset:4224
	ds_load_b128 v[4:7], v10 offset:7040
	s_wait_dscnt 0x0
	v_add_f64_e32 v[8:9], v[0:1], v[4:5]
	v_add_f64_e32 v[11:12], v[6:7], v[2:3]
	v_add_f64_e64 v[13:14], v[0:1], -v[4:5]
	v_add_f64_e64 v[0:1], v[2:3], -v[6:7]
	s_wait_loadcnt 0x0
	s_delay_alu instid0(VALU_DEP_2) | instskip(NEXT) | instid1(VALU_DEP_2)
	v_fma_f64 v[2:3], v[13:14], v[21:22], v[8:9]
	v_fma_f64 v[4:5], v[11:12], v[21:22], v[0:1]
	v_fma_f64 v[6:7], -v[13:14], v[21:22], v[8:9]
	v_fma_f64 v[8:9], v[11:12], v[21:22], -v[0:1]
	s_delay_alu instid0(VALU_DEP_4) | instskip(NEXT) | instid1(VALU_DEP_4)
	v_fma_f64 v[0:1], -v[11:12], v[19:20], v[2:3]
	v_fma_f64 v[2:3], v[13:14], v[19:20], v[4:5]
	s_delay_alu instid0(VALU_DEP_4) | instskip(NEXT) | instid1(VALU_DEP_4)
	v_fma_f64 v[4:5], v[11:12], v[19:20], v[6:7]
	v_fma_f64 v[6:7], v[13:14], v[19:20], v[8:9]
	ds_store_b128 v69, v[0:3] offset:4224
	ds_store_b128 v10, v[4:7] offset:7040
	global_wb scope:SCOPE_SE
	s_wait_dscnt 0x0
	s_barrier_signal -1
	s_barrier_wait -1
	global_inv scope:SCOPE_SE
	global_wb scope:SCOPE_SE
	s_barrier_signal -1
	s_barrier_wait -1
	global_inv scope:SCOPE_SE
	ds_load_b128 v[0:3], v53 offset:5632
	ds_load_b128 v[4:7], v69
	ds_load_b128 v[8:11], v53 offset:1408
	ds_load_b128 v[12:15], v53 offset:7040
	;; [unrolled: 1-line block ×6, first 2 shown]
	global_wb scope:SCOPE_SE
	s_wait_dscnt 0x0
	s_barrier_signal -1
	s_barrier_wait -1
	global_inv scope:SCOPE_SE
	v_add_f64_e64 v[0:1], v[4:5], -v[0:1]
	v_add_f64_e64 v[2:3], v[6:7], -v[2:3]
	;; [unrolled: 1-line block ×8, first 2 shown]
	v_fma_f64 v[4:5], v[4:5], 2.0, -v[0:1]
	v_fma_f64 v[6:7], v[6:7], 2.0, -v[2:3]
	;; [unrolled: 1-line block ×8, first 2 shown]
	ds_store_b128 v40, v[4:7]
	ds_store_b128 v40, v[0:3] offset:16
	ds_store_b128 v32, v[8:11]
	ds_store_b128 v32, v[12:15] offset:16
	;; [unrolled: 2-line block ×4, first 2 shown]
	global_wb scope:SCOPE_SE
	s_wait_dscnt 0x0
	s_barrier_signal -1
	s_barrier_wait -1
	global_inv scope:SCOPE_SE
	global_load_b128 v[0:3], v35, s[4:5]
	ds_load_b128 v[4:7], v53 offset:5632
	ds_load_b128 v[8:11], v53 offset:7040
	;; [unrolled: 1-line block ×4, first 2 shown]
	v_and_b32_e32 v40, 3, v52
	s_delay_alu instid0(VALU_DEP_1)
	v_lshlrev_b32_e32 v41, 4, v40
	s_wait_loadcnt_dscnt 0x3
	v_mul_f64_e32 v[20:21], v[6:7], v[2:3]
	v_mul_f64_e32 v[22:23], v[4:5], v[2:3]
	s_wait_dscnt 0x2
	v_mul_f64_e32 v[24:25], v[10:11], v[2:3]
	v_mul_f64_e32 v[26:27], v[8:9], v[2:3]
	s_wait_dscnt 0x1
	;; [unrolled: 3-line block ×3, first 2 shown]
	v_mul_f64_e32 v[32:33], v[18:19], v[2:3]
	v_mul_f64_e32 v[2:3], v[16:17], v[2:3]
	v_fma_f64 v[20:21], v[4:5], v[0:1], v[20:21]
	v_fma_f64 v[22:23], v[6:7], v[0:1], -v[22:23]
	v_fma_f64 v[24:25], v[8:9], v[0:1], v[24:25]
	v_fma_f64 v[26:27], v[10:11], v[0:1], -v[26:27]
	;; [unrolled: 2-line block ×4, first 2 shown]
	ds_load_b128 v[0:3], v69
	ds_load_b128 v[4:7], v53 offset:1408
	ds_load_b128 v[8:11], v53 offset:2816
	;; [unrolled: 1-line block ×3, first 2 shown]
	global_wb scope:SCOPE_SE
	s_wait_dscnt 0x0
	s_barrier_signal -1
	s_barrier_wait -1
	global_inv scope:SCOPE_SE
	v_add_f64_e64 v[16:17], v[0:1], -v[20:21]
	v_add_f64_e64 v[18:19], v[2:3], -v[22:23]
	v_add_f64_e64 v[20:21], v[4:5], -v[24:25]
	v_add_f64_e64 v[22:23], v[6:7], -v[26:27]
	v_add_f64_e64 v[24:25], v[8:9], -v[28:29]
	v_add_f64_e64 v[26:27], v[10:11], -v[30:31]
	v_add_f64_e64 v[28:29], v[12:13], -v[32:33]
	v_add_f64_e64 v[30:31], v[14:15], -v[34:35]
	v_fma_f64 v[0:1], v[0:1], 2.0, -v[16:17]
	v_fma_f64 v[2:3], v[2:3], 2.0, -v[18:19]
	;; [unrolled: 1-line block ×8, first 2 shown]
	v_lshlrev_b32_e32 v11, 1, v52
	v_lshlrev_b32_e32 v10, 1, v36
	;; [unrolled: 1-line block ×4, first 2 shown]
	s_delay_alu instid0(VALU_DEP_4) | instskip(NEXT) | instid1(VALU_DEP_4)
	v_and_or_b32 v36, 0xfc, v11, v39
	v_and_or_b32 v37, 0x1fc, v10, v39
	s_delay_alu instid0(VALU_DEP_4) | instskip(NEXT) | instid1(VALU_DEP_4)
	v_and_or_b32 v38, 0x3fc, v9, v39
	v_and_or_b32 v39, 0x3fc, v8, v39
	s_delay_alu instid0(VALU_DEP_4) | instskip(NEXT) | instid1(VALU_DEP_4)
	v_lshlrev_b32_e32 v36, 4, v36
	v_lshlrev_b32_e32 v37, 4, v37
	s_delay_alu instid0(VALU_DEP_4) | instskip(NEXT) | instid1(VALU_DEP_4)
	v_lshlrev_b32_e32 v38, 4, v38
	v_lshlrev_b32_e32 v39, 4, v39
	s_delay_alu instid0(VALU_DEP_4) | instskip(NEXT) | instid1(VALU_DEP_4)
	v_add3_u32 v36, 0, v36, v72
	v_add3_u32 v37, 0, v37, v72
	s_delay_alu instid0(VALU_DEP_4) | instskip(NEXT) | instid1(VALU_DEP_4)
	v_add3_u32 v38, 0, v38, v72
	v_add3_u32 v39, 0, v39, v72
	ds_store_b128 v36, v[0:3]
	ds_store_b128 v36, v[16:19] offset:32
	ds_store_b128 v37, v[4:7]
	ds_store_b128 v37, v[20:23] offset:32
	;; [unrolled: 2-line block ×4, first 2 shown]
	global_wb scope:SCOPE_SE
	s_wait_dscnt 0x0
	s_barrier_signal -1
	s_barrier_wait -1
	global_inv scope:SCOPE_SE
	global_load_b128 v[0:3], v41, s[4:5] offset:32
	ds_load_b128 v[4:7], v53 offset:5632
	ds_load_b128 v[12:15], v53 offset:7040
	;; [unrolled: 1-line block ×4, first 2 shown]
	s_wait_loadcnt_dscnt 0x3
	v_mul_f64_e32 v[24:25], v[6:7], v[2:3]
	v_mul_f64_e32 v[26:27], v[4:5], v[2:3]
	s_wait_dscnt 0x2
	v_mul_f64_e32 v[28:29], v[14:15], v[2:3]
	v_mul_f64_e32 v[30:31], v[12:13], v[2:3]
	s_wait_dscnt 0x1
	;; [unrolled: 3-line block ×3, first 2 shown]
	v_mul_f64_e32 v[36:37], v[22:23], v[2:3]
	v_mul_f64_e32 v[2:3], v[20:21], v[2:3]
	v_fma_f64 v[24:25], v[4:5], v[0:1], v[24:25]
	v_fma_f64 v[26:27], v[6:7], v[0:1], -v[26:27]
	v_fma_f64 v[28:29], v[12:13], v[0:1], v[28:29]
	v_fma_f64 v[30:31], v[14:15], v[0:1], -v[30:31]
	;; [unrolled: 2-line block ×4, first 2 shown]
	ds_load_b128 v[0:3], v69
	ds_load_b128 v[4:7], v53 offset:1408
	ds_load_b128 v[12:15], v53 offset:2816
	;; [unrolled: 1-line block ×3, first 2 shown]
	global_wb scope:SCOPE_SE
	s_wait_dscnt 0x0
	s_barrier_signal -1
	s_barrier_wait -1
	global_inv scope:SCOPE_SE
	v_add_f64_e64 v[20:21], v[0:1], -v[24:25]
	v_add_f64_e64 v[22:23], v[2:3], -v[26:27]
	;; [unrolled: 1-line block ×8, first 2 shown]
	v_and_or_b32 v36, 0xf8, v11, v40
	v_and_or_b32 v37, 0x1f8, v10, v40
	;; [unrolled: 1-line block ×4, first 2 shown]
	v_and_b32_e32 v40, 7, v52
	v_lshlrev_b32_e32 v36, 4, v36
	v_lshlrev_b32_e32 v37, 4, v37
	;; [unrolled: 1-line block ×5, first 2 shown]
	v_add3_u32 v36, 0, v36, v72
	v_add3_u32 v37, 0, v37, v72
	;; [unrolled: 1-line block ×4, first 2 shown]
	v_and_or_b32 v11, 0xf0, v11, v40
	v_and_or_b32 v9, 0x3f0, v9, v40
	;; [unrolled: 1-line block ×4, first 2 shown]
	s_delay_alu instid0(VALU_DEP_4) | instskip(NEXT) | instid1(VALU_DEP_4)
	v_lshlrev_b32_e32 v11, 4, v11
	v_lshlrev_b32_e32 v9, 4, v9
	s_delay_alu instid0(VALU_DEP_4) | instskip(NEXT) | instid1(VALU_DEP_4)
	v_lshlrev_b32_e32 v8, 4, v8
	v_lshlrev_b32_e32 v10, 4, v10
	s_delay_alu instid0(VALU_DEP_4) | instskip(NEXT) | instid1(VALU_DEP_4)
	v_add3_u32 v11, 0, v11, v72
	v_add3_u32 v9, 0, v9, v72
	s_delay_alu instid0(VALU_DEP_4) | instskip(NEXT) | instid1(VALU_DEP_4)
	v_add3_u32 v8, 0, v8, v72
	v_add3_u32 v10, 0, v10, v72
	v_fma_f64 v[0:1], v[0:1], 2.0, -v[20:21]
	v_fma_f64 v[2:3], v[2:3], 2.0, -v[22:23]
	;; [unrolled: 1-line block ×8, first 2 shown]
	ds_store_b128 v36, v[0:3]
	ds_store_b128 v36, v[20:23] offset:64
	ds_store_b128 v37, v[4:7]
	ds_store_b128 v37, v[24:27] offset:64
	;; [unrolled: 2-line block ×4, first 2 shown]
	global_wb scope:SCOPE_SE
	s_wait_dscnt 0x0
	s_barrier_signal -1
	s_barrier_wait -1
	global_inv scope:SCOPE_SE
	global_load_b128 v[0:3], v41, s[4:5] offset:96
	ds_load_b128 v[4:7], v53 offset:5632
	ds_load_b128 v[12:15], v53 offset:7040
	;; [unrolled: 1-line block ×4, first 2 shown]
	s_wait_loadcnt_dscnt 0x3
	v_mul_f64_e32 v[24:25], v[6:7], v[2:3]
	v_mul_f64_e32 v[26:27], v[4:5], v[2:3]
	s_wait_dscnt 0x2
	v_mul_f64_e32 v[28:29], v[14:15], v[2:3]
	v_mul_f64_e32 v[30:31], v[12:13], v[2:3]
	s_wait_dscnt 0x1
	;; [unrolled: 3-line block ×3, first 2 shown]
	v_mul_f64_e32 v[36:37], v[22:23], v[2:3]
	v_mul_f64_e32 v[2:3], v[20:21], v[2:3]
	v_fma_f64 v[24:25], v[4:5], v[0:1], v[24:25]
	v_fma_f64 v[26:27], v[6:7], v[0:1], -v[26:27]
	v_fma_f64 v[12:13], v[12:13], v[0:1], v[28:29]
	v_fma_f64 v[14:15], v[14:15], v[0:1], -v[30:31]
	;; [unrolled: 2-line block ×4, first 2 shown]
	ds_load_b128 v[0:3], v69
	ds_load_b128 v[4:7], v53 offset:1408
	ds_load_b128 v[20:23], v53 offset:2816
	;; [unrolled: 1-line block ×3, first 2 shown]
	global_wb scope:SCOPE_SE
	s_wait_dscnt 0x0
	s_barrier_signal -1
	s_barrier_wait -1
	global_inv scope:SCOPE_SE
	v_add_f64_e64 v[24:25], v[0:1], -v[24:25]
	v_add_f64_e64 v[26:27], v[2:3], -v[26:27]
	;; [unrolled: 1-line block ×8, first 2 shown]
	v_fma_f64 v[0:1], v[0:1], 2.0, -v[24:25]
	v_fma_f64 v[2:3], v[2:3], 2.0, -v[26:27]
	;; [unrolled: 1-line block ×8, first 2 shown]
	ds_store_b128 v11, v[0:3]
	ds_store_b128 v11, v[24:27] offset:128
	ds_store_b128 v10, v[4:7]
	ds_store_b128 v10, v[12:15] offset:128
	ds_store_b128 v9, v[20:23]
	ds_store_b128 v9, v[16:19] offset:128
	ds_store_b128 v8, v[28:31]
	ds_store_b128 v8, v[32:35] offset:128
	global_wb scope:SCOPE_SE
	s_wait_dscnt 0x0
	s_barrier_signal -1
	s_barrier_wait -1
	global_inv scope:SCOPE_SE
                                        ; implicit-def: $vgpr10_vgpr11
	s_and_saveexec_b32 s1, s0
	s_cbranch_execz .LBB0_19
; %bb.18:
	ds_load_b128 v[0:3], v69
	ds_load_b128 v[24:27], v53 offset:1024
	ds_load_b128 v[4:7], v53 offset:2048
	ds_load_b128 v[12:15], v53 offset:3072
	ds_load_b128 v[20:23], v53 offset:4096
	ds_load_b128 v[16:19], v53 offset:5120
	ds_load_b128 v[28:31], v53 offset:6144
	ds_load_b128 v[32:35], v53 offset:7168
	ds_load_b128 v[44:47], v53 offset:8192
	ds_load_b128 v[8:11], v53 offset:9216
	ds_load_b128 v[48:51], v53 offset:10240
.LBB0_19:
	s_wait_alu 0xfffe
	s_or_b32 exec_lo, exec_lo, s1
	global_wb scope:SCOPE_SE
	s_wait_dscnt 0x0
	s_barrier_signal -1
	s_barrier_wait -1
	global_inv scope:SCOPE_SE
	s_and_saveexec_b32 s30, s0
	s_cbranch_execz .LBB0_21
; %bb.20:
	v_and_b32_e32 v74, 15, v52
	s_mov_b32 s22, 0xbb3a28a1
	s_mov_b32 s16, 0xfd768dbf
	;; [unrolled: 1-line block ×4, first 2 shown]
	v_mul_u32_u24_e32 v36, 10, v74
	s_mov_b32 s18, 0x43842ef
	s_mov_b32 s15, 0x3fed1bb4
	;; [unrolled: 1-line block ×4, first 2 shown]
	v_lshlrev_b32_e32 v36, 4, v36
	s_mov_b32 s20, 0xf8bb580b
	s_mov_b32 s21, 0x3fe14ced
	;; [unrolled: 1-line block ×3, first 2 shown]
	s_wait_alu 0xfffe
	s_mov_b32 s24, s20
	s_clause 0x9
	global_load_b128 v[60:63], v36, s[4:5] offset:224
	global_load_b128 v[75:78], v36, s[4:5] offset:288
	;; [unrolled: 1-line block ×10, first 2 shown]
	s_mov_b32 s12, 0x7f775887
	s_mov_b32 s6, 0x9bcd5057
	;; [unrolled: 1-line block ×14, first 2 shown]
	s_wait_loadcnt 0x9
	v_mul_f64_e32 v[64:65], v[24:25], v[62:63]
	v_mul_f64_e32 v[62:63], v[26:27], v[62:63]
	s_wait_loadcnt 0x8
	v_mul_f64_e32 v[103:104], v[18:19], v[77:78]
	v_mul_f64_e32 v[77:78], v[16:17], v[77:78]
	;; [unrolled: 3-line block ×4, first 2 shown]
	s_wait_loadcnt 0x2
	v_mul_f64_e32 v[115:116], v[46:47], v[101:102]
	s_wait_loadcnt 0x1
	v_mul_f64_e32 v[117:118], v[4:5], v[42:43]
	v_mul_f64_e32 v[119:120], v[6:7], v[42:43]
	;; [unrolled: 1-line block ×9, first 2 shown]
	s_wait_loadcnt 0x0
	v_mul_f64_e32 v[121:122], v[10:11], v[38:39]
	v_mul_f64_e32 v[123:124], v[8:9], v[38:39]
	v_fma_f64 v[66:67], v[26:27], v[60:61], -v[64:65]
	v_fma_f64 v[64:65], v[24:25], v[60:61], v[62:63]
	v_fma_f64 v[38:39], v[16:17], v[75:76], v[103:104]
	v_fma_f64 v[42:43], v[18:19], v[75:76], -v[77:78]
	v_fma_f64 v[60:61], v[20:21], v[79:80], v[105:106]
	v_fma_f64 v[62:63], v[22:23], v[79:80], -v[81:82]
	;; [unrolled: 2-line block ×4, first 2 shown]
	v_fma_f64 v[34:35], v[4:5], v[40:41], v[119:120]
	v_fma_f64 v[16:17], v[48:49], v[87:88], v[109:110]
	;; [unrolled: 1-line block ×4, first 2 shown]
	v_fma_f64 v[12:13], v[50:51], v[87:88], -v[89:90]
	v_fma_f64 v[26:27], v[30:31], v[91:92], -v[93:94]
	;; [unrolled: 1-line block ×4, first 2 shown]
	v_fma_f64 v[4:5], v[8:9], v[36:37], v[121:122]
	v_fma_f64 v[6:7], v[10:11], v[36:37], -v[123:124]
	v_add_f64_e32 v[40:41], v[2:3], v[66:67]
	v_add_f64_e32 v[44:45], v[0:1], v[64:65]
	v_add_f64_e64 v[8:9], v[60:61], -v[20:21]
	v_add_f64_e64 v[36:37], v[62:63], -v[22:23]
	v_add_f64_e32 v[85:86], v[62:63], v[22:23]
	v_add_f64_e32 v[93:94], v[60:61], v[20:21]
	v_add_f64_e64 v[10:11], v[64:65], -v[16:17]
	v_add_f64_e64 v[46:47], v[38:39], -v[24:25]
	;; [unrolled: 1-line block ×5, first 2 shown]
	v_add_f64_e32 v[91:92], v[28:29], v[18:19]
	v_add_f64_e64 v[75:76], v[30:31], -v[14:15]
	v_add_f64_e32 v[87:88], v[30:31], v[14:15]
	v_add_f64_e64 v[79:80], v[34:35], -v[4:5]
	;; [unrolled: 2-line block ×3, first 2 shown]
	v_add_f64_e32 v[64:65], v[64:65], v[16:17]
	v_add_f64_e32 v[83:84], v[42:43], v[26:27]
	;; [unrolled: 1-line block ×7, first 2 shown]
	v_mul_f64_e32 v[95:96], s[14:15], v[8:9]
	v_mul_f64_e32 v[99:100], s[14:15], v[36:37]
	;; [unrolled: 1-line block ×3, first 2 shown]
	s_wait_alu 0xfffe
	v_mul_f64_e32 v[155:156], s[24:25], v[8:9]
	v_mul_f64_e32 v[157:158], s[26:27], v[8:9]
	;; [unrolled: 1-line block ×10, first 2 shown]
	s_mov_b32 s15, 0xbfed1bb4
	v_mul_f64_e32 v[107:108], s[18:19], v[10:11]
	v_mul_f64_e32 v[119:120], s[18:19], v[77:78]
	;; [unrolled: 1-line block ×3, first 2 shown]
	s_wait_alu 0xfffe
	v_mul_f64_e32 v[10:11], s[14:15], v[10:11]
	v_mul_f64_e32 v[125:126], s[22:23], v[50:51]
	;; [unrolled: 1-line block ×15, first 2 shown]
	v_add_f64_e32 v[30:31], v[40:41], v[30:31]
	v_add_f64_e32 v[28:29], v[44:45], v[28:29]
	v_mul_f64_e32 v[40:41], s[24:25], v[77:78]
	v_mul_f64_e32 v[77:78], s[14:15], v[77:78]
	;; [unrolled: 1-line block ×11, first 2 shown]
	v_fma_f64 v[207:208], v[85:86], s[2:3], v[95:96]
	v_fma_f64 v[175:176], v[64:65], s[6:7], -v[115:116]
	v_fma_f64 v[115:116], v[64:65], s[6:7], v[115:116]
	v_fma_f64 v[177:178], v[64:65], s[12:13], -v[117:118]
	v_fma_f64 v[117:118], v[64:65], s[12:13], v[117:118]
	v_fma_f64 v[187:188], v[87:88], s[2:3], v[109:110]
	v_fma_f64 v[109:110], v[87:88], s[2:3], -v[109:110]
	v_fma_f64 v[171:172], v[66:67], s[0:1], v[107:108]
	v_fma_f64 v[107:108], v[66:67], s[0:1], -v[107:108]
	v_fma_f64 v[179:180], v[64:65], s[0:1], -v[119:120]
	v_fma_f64 v[119:120], v[64:65], s[0:1], v[119:120]
	v_fma_f64 v[173:174], v[66:67], s[10:11], v[111:112]
	v_fma_f64 v[111:112], v[66:67], s[10:11], -v[111:112]
	v_fma_f64 v[197:198], v[66:67], s[2:3], -v[10:11]
	v_fma_f64 v[10:11], v[66:67], s[2:3], v[10:11]
	v_fma_f64 v[183:184], v[87:88], s[12:13], v[125:126]
	v_fma_f64 v[125:126], v[87:88], s[12:13], -v[125:126]
	v_fma_f64 v[185:186], v[87:88], s[10:11], v[127:128]
	v_fma_f64 v[127:128], v[87:88], s[10:11], -v[127:128]
	;; [unrolled: 2-line block ×5, first 2 shown]
	v_add_f64_e32 v[30:31], v[30:31], v[62:63]
	v_add_f64_e32 v[28:29], v[28:29], v[60:61]
	v_mul_f64_e32 v[60:61], s[14:15], v[81:82]
	v_fma_f64 v[62:63], v[66:67], s[6:7], v[97:98]
	v_fma_f64 v[81:82], v[66:67], s[6:7], -v[97:98]
	v_fma_f64 v[97:98], v[66:67], s[12:13], v[103:104]
	v_fma_f64 v[103:104], v[66:67], s[12:13], -v[103:104]
	v_fma_f64 v[181:182], v[64:65], s[10:11], -v[40:41]
	v_fma_f64 v[40:41], v[64:65], s[10:11], v[40:41]
	v_fma_f64 v[199:200], v[64:65], s[2:3], v[77:78]
	v_fma_f64 v[64:65], v[64:65], s[2:3], -v[77:78]
	v_fma_f64 v[193:194], v[32:33], s[0:1], v[133:134]
	v_fma_f64 v[133:134], v[32:33], s[0:1], -v[133:134]
	;; [unrolled: 2-line block ×3, first 2 shown]
	v_fma_f64 v[77:78], v[34:35], s[10:11], -v[139:140]
	v_fma_f64 v[201:202], v[34:35], s[12:13], -v[145:146]
	v_fma_f64 v[145:146], v[34:35], s[12:13], v[145:146]
	v_fma_f64 v[205:206], v[32:33], s[2:3], v[79:80]
	v_add_f64_e32 v[115:116], v[0:1], v[115:116]
	v_add_f64_e32 v[117:118], v[0:1], v[117:118]
	;; [unrolled: 1-line block ×7, first 2 shown]
	v_fma_f64 v[203:204], v[91:92], s[12:13], -v[147:148]
	v_fma_f64 v[147:148], v[91:92], s[12:13], v[147:148]
	v_fma_f64 v[95:96], v[85:86], s[2:3], -v[95:96]
	v_fma_f64 v[209:210], v[85:86], s[6:7], v[123:124]
	v_fma_f64 v[123:124], v[85:86], s[6:7], -v[123:124]
	v_mul_f64_e32 v[44:45], s[18:19], v[46:47]
	v_mul_f64_e32 v[121:122], s[22:23], v[46:47]
	;; [unrolled: 1-line block ×7, first 2 shown]
	v_add_f64_e32 v[30:31], v[30:31], v[42:43]
	v_add_f64_e32 v[28:29], v[28:29], v[38:39]
	v_fma_f64 v[38:39], v[32:33], s[6:7], -v[135:136]
	v_fma_f64 v[42:43], v[32:33], s[12:13], v[137:138]
	v_fma_f64 v[135:136], v[34:35], s[10:11], v[139:140]
	v_fma_f64 v[137:138], v[34:35], s[0:1], -v[141:142]
	v_fma_f64 v[139:140], v[34:35], s[0:1], v[141:142]
	v_fma_f64 v[141:142], v[34:35], s[6:7], -v[143:144]
	;; [unrolled: 2-line block ×3, first 2 shown]
	v_fma_f64 v[79:80], v[34:35], s[2:3], -v[60:61]
	v_fma_f64 v[34:35], v[34:35], s[2:3], v[60:61]
	v_add_f64_e32 v[60:61], v[2:3], v[62:63]
	v_add_f64_e32 v[62:63], v[0:1], v[175:176]
	;; [unrolled: 1-line block ×13, first 2 shown]
	v_fma_f64 v[64:65], v[91:92], s[2:3], -v[113:114]
	v_fma_f64 v[113:114], v[91:92], s[2:3], v[113:114]
	v_fma_f64 v[181:182], v[91:92], s[0:1], -v[75:76]
	v_fma_f64 v[75:76], v[91:92], s[0:1], v[75:76]
	v_fma_f64 v[199:200], v[83:84], s[2:3], v[101:102]
	v_fma_f64 v[101:102], v[83:84], s[2:3], -v[101:102]
	v_add_f64_e32 v[26:27], v[30:31], v[26:27]
	v_add_f64_e32 v[24:25], v[28:29], v[24:25]
	v_fma_f64 v[30:31], v[91:92], s[10:11], v[149:150]
	v_fma_f64 v[28:29], v[91:92], s[10:11], -v[149:150]
	v_add_f64_e32 v[38:39], v[38:39], v[107:108]
	v_fma_f64 v[149:150], v[91:92], s[6:7], -v[151:152]
	v_fma_f64 v[151:152], v[91:92], s[6:7], v[151:152]
	v_fma_f64 v[91:92], v[83:84], s[0:1], v[44:45]
	v_add_f64_e32 v[107:108], v[143:144], v[119:120]
	v_add_f64_e32 v[32:33], v[32:33], v[111:112]
	;; [unrolled: 1-line block ×3, first 2 shown]
	v_fma_f64 v[111:112], v[85:86], s[12:13], v[8:9]
	v_add_f64_e32 v[60:61], v[87:88], v[60:61]
	v_add_f64_e32 v[62:63], v[77:78], v[62:63]
	;; [unrolled: 1-line block ×16, first 2 shown]
	v_fma_f64 v[42:43], v[85:86], s[0:1], v[157:158]
	v_fma_f64 v[79:80], v[85:86], s[0:1], -v[157:158]
	v_fma_f64 v[8:9], v[85:86], s[12:13], -v[8:9]
	;; [unrolled: 1-line block ×3, first 2 shown]
	v_fma_f64 v[135:136], v[93:94], s[6:7], v[159:160]
	v_fma_f64 v[137:138], v[93:94], s[10:11], -v[161:162]
	v_fma_f64 v[139:140], v[93:94], s[10:11], v[161:162]
	v_fma_f64 v[141:142], v[93:94], s[0:1], -v[163:164]
	;; [unrolled: 2-line block ×3, first 2 shown]
	v_add_f64_e32 v[22:23], v[26:27], v[22:23]
	v_add_f64_e32 v[20:21], v[24:25], v[20:21]
	v_fma_f64 v[24:25], v[85:86], s[10:11], v[155:156]
	v_fma_f64 v[26:27], v[85:86], s[10:11], -v[155:156]
	v_fma_f64 v[85:86], v[93:94], s[2:3], -v[99:100]
	v_fma_f64 v[99:100], v[93:94], s[2:3], v[99:100]
	v_fma_f64 v[36:37], v[93:94], s[12:13], v[36:37]
	v_add_f64_e32 v[38:39], v[109:110], v[38:39]
	v_fma_f64 v[44:45], v[83:84], s[0:1], -v[44:45]
	v_add_f64_e32 v[32:33], v[50:51], v[32:33]
	v_fma_f64 v[109:110], v[83:84], s[10:11], -v[153:154]
	v_add_f64_e32 v[60:61], v[183:184], v[60:61]
	v_add_f64_e32 v[62:63], v[203:204], v[62:63]
	;; [unrolled: 1-line block ×18, first 2 shown]
	v_fma_f64 v[115:116], v[89:90], s[2:3], -v[105:106]
	v_fma_f64 v[105:106], v[89:90], s[2:3], v[105:106]
	v_fma_f64 v[66:67], v[83:84], s[12:13], -v[121:122]
	v_fma_f64 v[75:76], v[83:84], s[10:11], v[153:154]
	v_fma_f64 v[113:114], v[83:84], s[6:7], v[46:47]
	v_fma_f64 v[46:47], v[83:84], s[6:7], -v[46:47]
	v_fma_f64 v[119:120], v[89:90], s[12:13], v[167:168]
	v_fma_f64 v[125:126], v[89:90], s[10:11], v[169:170]
	v_add_f64_e32 v[14:15], v[22:23], v[14:15]
	v_add_f64_e32 v[18:19], v[20:21], v[18:19]
	v_fma_f64 v[20:21], v[89:90], s[0:1], -v[165:166]
	v_fma_f64 v[22:23], v[83:84], s[12:13], v[121:122]
	v_fma_f64 v[83:84], v[89:90], s[0:1], v[165:166]
	v_fma_f64 v[127:128], v[89:90], s[6:7], -v[48:49]
	v_fma_f64 v[48:49], v[89:90], s[6:7], v[48:49]
	v_add_f64_e32 v[26:27], v[26:27], v[38:39]
	v_fma_f64 v[117:118], v[89:90], s[12:13], -v[167:168]
	v_fma_f64 v[121:122], v[89:90], s[10:11], -v[169:170]
	v_add_f64_e32 v[32:33], v[8:9], v[32:33]
	v_add_f64_e32 v[60:61], v[207:208], v[60:61]
	;; [unrolled: 1-line block ×43, first 2 shown]
	v_lshrrev_b32_e32 v16, 4, v52
	s_delay_alu instid0(VALU_DEP_1) | instskip(NEXT) | instid1(VALU_DEP_1)
	v_mul_u32_u24_e32 v16, 0xb0, v16
	v_or_b32_e32 v16, v16, v74
	s_delay_alu instid0(VALU_DEP_1) | instskip(NEXT) | instid1(VALU_DEP_1)
	v_lshlrev_b32_e32 v16, 4, v16
	v_add3_u32 v16, 0, v16, v72
	ds_store_b128 v16, v[18:21] offset:1024
	ds_store_b128 v16, v[4:7] offset:1280
	;; [unrolled: 1-line block ×9, first 2 shown]
	ds_store_b128 v16, v[42:45]
	ds_store_b128 v16, v[12:15] offset:2560
.LBB0_21:
	s_or_b32 exec_lo, exec_lo, s30
	v_add_co_u32 v24, s0, s4, v56
	s_wait_alu 0xf1ff
	v_add_co_ci_u32_e64 v25, s0, s5, v57, s0
	v_add_co_u32 v26, s0, s4, v58
	s_wait_alu 0xf1ff
	v_add_co_ci_u32_e64 v27, s0, s5, v59, s0
	global_wb scope:SCOPE_SE
	s_wait_dscnt 0x0
	s_barrier_signal -1
	s_barrier_wait -1
	global_inv scope:SCOPE_SE
	s_clause 0x1
	global_load_b128 v[0:3], v[24:25], off offset:2784
	global_load_b128 v[4:7], v[26:27], off offset:4192
	ds_load_b128 v[8:11], v53 offset:5632
	ds_load_b128 v[12:15], v53 offset:7040
	ds_load_b128 v[16:19], v53 offset:8448
	ds_load_b128 v[20:23], v53 offset:9856
	s_wait_loadcnt_dscnt 0x103
	v_mul_f64_e32 v[28:29], v[10:11], v[2:3]
	v_mul_f64_e32 v[30:31], v[8:9], v[2:3]
	s_wait_loadcnt_dscnt 0x2
	v_mul_f64_e32 v[32:33], v[14:15], v[6:7]
	v_mul_f64_e32 v[34:35], v[12:13], v[6:7]
	s_wait_dscnt 0x1
	v_mul_f64_e32 v[36:37], v[18:19], v[2:3]
	v_mul_f64_e32 v[2:3], v[16:17], v[2:3]
	s_wait_dscnt 0x0
	v_mul_f64_e32 v[38:39], v[22:23], v[6:7]
	v_mul_f64_e32 v[6:7], v[20:21], v[6:7]
	v_fma_f64 v[28:29], v[8:9], v[0:1], v[28:29]
	v_fma_f64 v[30:31], v[10:11], v[0:1], -v[30:31]
	v_fma_f64 v[32:33], v[12:13], v[4:5], v[32:33]
	v_fma_f64 v[34:35], v[14:15], v[4:5], -v[34:35]
	;; [unrolled: 2-line block ×4, first 2 shown]
	ds_load_b128 v[0:3], v69
	ds_load_b128 v[4:7], v53 offset:1408
	ds_load_b128 v[8:11], v53 offset:2816
	ds_load_b128 v[12:15], v53 offset:4224
	global_wb scope:SCOPE_SE
	s_wait_dscnt 0x0
	s_barrier_signal -1
	s_barrier_wait -1
	global_inv scope:SCOPE_SE
	v_add_f64_e64 v[16:17], v[0:1], -v[28:29]
	v_add_f64_e64 v[18:19], v[2:3], -v[30:31]
	;; [unrolled: 1-line block ×8, first 2 shown]
	v_sub_nc_u32_e32 v36, v73, v71
	s_delay_alu instid0(VALU_DEP_1) | instskip(NEXT) | instid1(VALU_DEP_1)
	v_lshl_add_u32 v36, v70, 4, v36
	v_add_nc_u32_e32 v37, 0x1000, v36
	v_add_nc_u32_e32 v40, 0x1800, v36
	;; [unrolled: 1-line block ×3, first 2 shown]
	v_fma_f64 v[0:1], v[0:1], 2.0, -v[16:17]
	v_fma_f64 v[2:3], v[2:3], 2.0, -v[18:19]
	;; [unrolled: 1-line block ×8, first 2 shown]
	ds_store_b128 v53, v[16:19] offset:2816
	ds_store_b128 v53, v[0:3]
	ds_store_b128 v53, v[4:7] offset:1408
	ds_store_2addr_b64 v37, v[28:29], v[30:31] offset0:16 offset1:17
	ds_store_b128 v53, v[8:11] offset:5632
	ds_store_b128 v53, v[20:23] offset:8448
	ds_store_2addr_b64 v40, v[12:13], v[14:15] offset0:112 offset1:113
	ds_store_2addr_b64 v41, v[32:33], v[34:35] offset0:208 offset1:209
	global_wb scope:SCOPE_SE
	s_wait_dscnt 0x0
	s_barrier_signal -1
	s_barrier_wait -1
	global_inv scope:SCOPE_SE
	s_clause 0x3
	global_load_b128 v[0:3], v[24:25], off offset:5600
	global_load_b128 v[4:7], v[26:27], off offset:7008
	;; [unrolled: 1-line block ×4, first 2 shown]
	ds_load_b128 v[16:19], v53 offset:5632
	ds_load_b128 v[20:23], v53 offset:7040
	;; [unrolled: 1-line block ×4, first 2 shown]
	s_wait_loadcnt_dscnt 0x303
	v_mul_f64_e32 v[32:33], v[18:19], v[2:3]
	v_mul_f64_e32 v[2:3], v[16:17], v[2:3]
	s_wait_loadcnt_dscnt 0x202
	v_mul_f64_e32 v[34:35], v[22:23], v[6:7]
	v_mul_f64_e32 v[6:7], v[20:21], v[6:7]
	;; [unrolled: 3-line block ×4, first 2 shown]
	v_fma_f64 v[16:17], v[16:17], v[0:1], v[32:33]
	v_fma_f64 v[18:19], v[18:19], v[0:1], -v[2:3]
	v_fma_f64 v[20:21], v[20:21], v[4:5], v[34:35]
	v_fma_f64 v[22:23], v[22:23], v[4:5], -v[6:7]
	;; [unrolled: 2-line block ×4, first 2 shown]
	ds_load_b128 v[0:3], v69
	ds_load_b128 v[4:7], v53 offset:1408
	ds_load_b128 v[8:11], v53 offset:2816
	;; [unrolled: 1-line block ×3, first 2 shown]
	global_wb scope:SCOPE_SE
	s_wait_dscnt 0x0
	s_barrier_signal -1
	s_barrier_wait -1
	global_inv scope:SCOPE_SE
	v_add_f64_e64 v[16:17], v[0:1], -v[16:17]
	v_add_f64_e64 v[18:19], v[2:3], -v[18:19]
	;; [unrolled: 1-line block ×8, first 2 shown]
	v_fma_f64 v[0:1], v[0:1], 2.0, -v[16:17]
	v_fma_f64 v[2:3], v[2:3], 2.0, -v[18:19]
	;; [unrolled: 1-line block ×8, first 2 shown]
	ds_store_b128 v53, v[16:19] offset:5632
	ds_store_b128 v53, v[0:3]
	ds_store_b128 v53, v[4:7] offset:1408
	ds_store_2addr_b64 v40, v[20:21], v[22:23] offset0:112 offset1:113
	ds_store_b128 v53, v[8:11] offset:2816
	ds_store_2addr_b64 v41, v[24:25], v[26:27] offset0:32 offset1:33
	;; [unrolled: 2-line block ×3, first 2 shown]
	global_wb scope:SCOPE_SE
	s_wait_dscnt 0x0
	s_barrier_signal -1
	s_barrier_wait -1
	global_inv scope:SCOPE_SE
	s_and_saveexec_b32 s0, vcc_lo
	s_cbranch_execz .LBB0_23
; %bb.22:
	v_lshl_add_u32 v20, v52, 4, v68
	v_dual_mov_b32 v53, 0 :: v_dual_add_nc_u32 v8, 0x58, v52
	v_add_co_u32 v36, vcc_lo, s8, v54
	ds_load_b128 v[0:3], v20
	ds_load_b128 v[4:7], v20 offset:1408
	v_dual_mov_b32 v9, v53 :: v_dual_add_nc_u32 v12, 0xb0, v52
	v_lshlrev_b64_e32 v[10:11], 4, v[52:53]
	s_wait_alu 0xfffd
	v_add_co_ci_u32_e32 v37, vcc_lo, s9, v55, vcc_lo
	s_delay_alu instid0(VALU_DEP_3) | instskip(SKIP_1) | instid1(VALU_DEP_4)
	v_lshlrev_b64_e32 v[8:9], 4, v[8:9]
	v_dual_mov_b32 v13, v53 :: v_dual_add_nc_u32 v14, 0x108, v52
	v_add_co_u32 v10, vcc_lo, v36, v10
	s_wait_alu 0xfffd
	v_add_co_ci_u32_e32 v11, vcc_lo, v37, v11, vcc_lo
	s_delay_alu instid0(VALU_DEP_4)
	v_add_co_u32 v8, vcc_lo, v36, v8
	v_mov_b32_e32 v15, v53
	s_wait_alu 0xfffd
	v_add_co_ci_u32_e32 v9, vcc_lo, v37, v9, vcc_lo
	v_lshlrev_b64_e32 v[12:13], 4, v[12:13]
	v_dual_mov_b32 v17, v53 :: v_dual_add_nc_u32 v18, 0x210, v52
	s_wait_dscnt 0x1
	global_store_b128 v[10:11], v[0:3], off
	s_wait_dscnt 0x0
	global_store_b128 v[8:9], v[4:7], off
	v_add_nc_u32_e32 v10, 0x160, v52
	v_lshlrev_b64_e32 v[8:9], 4, v[14:15]
	v_add_co_u32 v24, vcc_lo, v36, v12
	v_dual_mov_b32 v11, v53 :: v_dual_add_nc_u32 v16, 0x1b8, v52
	s_wait_alu 0xfffd
	v_add_co_ci_u32_e32 v25, vcc_lo, v37, v13, vcc_lo
	s_delay_alu instid0(VALU_DEP_4)
	v_add_co_u32 v26, vcc_lo, v36, v8
	s_wait_alu 0xfffd
	v_add_co_ci_u32_e32 v27, vcc_lo, v37, v9, vcc_lo
	v_lshlrev_b64_e32 v[8:9], 4, v[10:11]
	v_dual_mov_b32 v19, v53 :: v_dual_add_nc_u32 v52, 0x268, v52
	ds_load_b128 v[0:3], v20 offset:2816
	ds_load_b128 v[4:7], v20 offset:4224
	v_lshlrev_b64_e32 v[30:31], 4, v[16:17]
	v_add_co_u32 v28, vcc_lo, v36, v8
	s_wait_alu 0xfffd
	v_add_co_ci_u32_e32 v29, vcc_lo, v37, v9, vcc_lo
	ds_load_b128 v[8:11], v20 offset:5632
	ds_load_b128 v[12:15], v20 offset:7040
	v_lshlrev_b64_e32 v[32:33], 4, v[18:19]
	ds_load_b128 v[16:19], v20 offset:8448
	ds_load_b128 v[20:23], v20 offset:9856
	v_add_co_u32 v30, vcc_lo, v36, v30
	v_lshlrev_b64_e32 v[34:35], 4, v[52:53]
	s_wait_alu 0xfffd
	v_add_co_ci_u32_e32 v31, vcc_lo, v37, v31, vcc_lo
	v_add_co_u32 v32, vcc_lo, v36, v32
	s_wait_alu 0xfffd
	v_add_co_ci_u32_e32 v33, vcc_lo, v37, v33, vcc_lo
	v_add_co_u32 v34, vcc_lo, v36, v34
	s_wait_alu 0xfffd
	v_add_co_ci_u32_e32 v35, vcc_lo, v37, v35, vcc_lo
	s_wait_dscnt 0x5
	global_store_b128 v[24:25], v[0:3], off
	s_wait_dscnt 0x4
	global_store_b128 v[26:27], v[4:7], off
	;; [unrolled: 2-line block ×6, first 2 shown]
.LBB0_23:
	s_nop 0
	s_sendmsg sendmsg(MSG_DEALLOC_VGPRS)
	s_endpgm
	.section	.rodata,"a",@progbits
	.p2align	6, 0x0
	.amdhsa_kernel fft_rtc_back_len704_factors_2_2_2_2_11_2_2_wgs_176_tpt_88_halfLds_dp_ip_CI_unitstride_sbrr_C2R_dirReg
		.amdhsa_group_segment_fixed_size 0
		.amdhsa_private_segment_fixed_size 0
		.amdhsa_kernarg_size 88
		.amdhsa_user_sgpr_count 2
		.amdhsa_user_sgpr_dispatch_ptr 0
		.amdhsa_user_sgpr_queue_ptr 0
		.amdhsa_user_sgpr_kernarg_segment_ptr 1
		.amdhsa_user_sgpr_dispatch_id 0
		.amdhsa_user_sgpr_private_segment_size 0
		.amdhsa_wavefront_size32 1
		.amdhsa_uses_dynamic_stack 0
		.amdhsa_enable_private_segment 0
		.amdhsa_system_sgpr_workgroup_id_x 1
		.amdhsa_system_sgpr_workgroup_id_y 0
		.amdhsa_system_sgpr_workgroup_id_z 0
		.amdhsa_system_sgpr_workgroup_info 0
		.amdhsa_system_vgpr_workitem_id 0
		.amdhsa_next_free_vgpr 211
		.amdhsa_next_free_sgpr 32
		.amdhsa_reserve_vcc 1
		.amdhsa_float_round_mode_32 0
		.amdhsa_float_round_mode_16_64 0
		.amdhsa_float_denorm_mode_32 3
		.amdhsa_float_denorm_mode_16_64 3
		.amdhsa_fp16_overflow 0
		.amdhsa_workgroup_processor_mode 1
		.amdhsa_memory_ordered 1
		.amdhsa_forward_progress 0
		.amdhsa_round_robin_scheduling 0
		.amdhsa_exception_fp_ieee_invalid_op 0
		.amdhsa_exception_fp_denorm_src 0
		.amdhsa_exception_fp_ieee_div_zero 0
		.amdhsa_exception_fp_ieee_overflow 0
		.amdhsa_exception_fp_ieee_underflow 0
		.amdhsa_exception_fp_ieee_inexact 0
		.amdhsa_exception_int_div_zero 0
	.end_amdhsa_kernel
	.text
.Lfunc_end0:
	.size	fft_rtc_back_len704_factors_2_2_2_2_11_2_2_wgs_176_tpt_88_halfLds_dp_ip_CI_unitstride_sbrr_C2R_dirReg, .Lfunc_end0-fft_rtc_back_len704_factors_2_2_2_2_11_2_2_wgs_176_tpt_88_halfLds_dp_ip_CI_unitstride_sbrr_C2R_dirReg
                                        ; -- End function
	.section	.AMDGPU.csdata,"",@progbits
; Kernel info:
; codeLenInByte = 8784
; NumSgprs: 34
; NumVgprs: 211
; ScratchSize: 0
; MemoryBound: 0
; FloatMode: 240
; IeeeMode: 1
; LDSByteSize: 0 bytes/workgroup (compile time only)
; SGPRBlocks: 4
; VGPRBlocks: 26
; NumSGPRsForWavesPerEU: 34
; NumVGPRsForWavesPerEU: 211
; Occupancy: 7
; WaveLimiterHint : 1
; COMPUTE_PGM_RSRC2:SCRATCH_EN: 0
; COMPUTE_PGM_RSRC2:USER_SGPR: 2
; COMPUTE_PGM_RSRC2:TRAP_HANDLER: 0
; COMPUTE_PGM_RSRC2:TGID_X_EN: 1
; COMPUTE_PGM_RSRC2:TGID_Y_EN: 0
; COMPUTE_PGM_RSRC2:TGID_Z_EN: 0
; COMPUTE_PGM_RSRC2:TIDIG_COMP_CNT: 0
	.text
	.p2alignl 7, 3214868480
	.fill 96, 4, 3214868480
	.type	__hip_cuid_f66b1231eb226785,@object ; @__hip_cuid_f66b1231eb226785
	.section	.bss,"aw",@nobits
	.globl	__hip_cuid_f66b1231eb226785
__hip_cuid_f66b1231eb226785:
	.byte	0                               ; 0x0
	.size	__hip_cuid_f66b1231eb226785, 1

	.ident	"AMD clang version 19.0.0git (https://github.com/RadeonOpenCompute/llvm-project roc-6.4.0 25133 c7fe45cf4b819c5991fe208aaa96edf142730f1d)"
	.section	".note.GNU-stack","",@progbits
	.addrsig
	.addrsig_sym __hip_cuid_f66b1231eb226785
	.amdgpu_metadata
---
amdhsa.kernels:
  - .args:
      - .actual_access:  read_only
        .address_space:  global
        .offset:         0
        .size:           8
        .value_kind:     global_buffer
      - .offset:         8
        .size:           8
        .value_kind:     by_value
      - .actual_access:  read_only
        .address_space:  global
        .offset:         16
        .size:           8
        .value_kind:     global_buffer
      - .actual_access:  read_only
        .address_space:  global
        .offset:         24
        .size:           8
        .value_kind:     global_buffer
      - .offset:         32
        .size:           8
        .value_kind:     by_value
      - .actual_access:  read_only
        .address_space:  global
        .offset:         40
        .size:           8
        .value_kind:     global_buffer
      - .actual_access:  read_only
        .address_space:  global
        .offset:         48
        .size:           8
        .value_kind:     global_buffer
      - .offset:         56
        .size:           4
        .value_kind:     by_value
      - .actual_access:  read_only
        .address_space:  global
        .offset:         64
        .size:           8
        .value_kind:     global_buffer
      - .actual_access:  read_only
        .address_space:  global
        .offset:         72
        .size:           8
        .value_kind:     global_buffer
      - .address_space:  global
        .offset:         80
        .size:           8
        .value_kind:     global_buffer
    .group_segment_fixed_size: 0
    .kernarg_segment_align: 8
    .kernarg_segment_size: 88
    .language:       OpenCL C
    .language_version:
      - 2
      - 0
    .max_flat_workgroup_size: 176
    .name:           fft_rtc_back_len704_factors_2_2_2_2_11_2_2_wgs_176_tpt_88_halfLds_dp_ip_CI_unitstride_sbrr_C2R_dirReg
    .private_segment_fixed_size: 0
    .sgpr_count:     34
    .sgpr_spill_count: 0
    .symbol:         fft_rtc_back_len704_factors_2_2_2_2_11_2_2_wgs_176_tpt_88_halfLds_dp_ip_CI_unitstride_sbrr_C2R_dirReg.kd
    .uniform_work_group_size: 1
    .uses_dynamic_stack: false
    .vgpr_count:     211
    .vgpr_spill_count: 0
    .wavefront_size: 32
    .workgroup_processor_mode: 1
amdhsa.target:   amdgcn-amd-amdhsa--gfx1201
amdhsa.version:
  - 1
  - 2
...

	.end_amdgpu_metadata
